;; amdgpu-corpus repo=ROCm/rocFFT kind=compiled arch=gfx906 opt=O3
	.text
	.amdgcn_target "amdgcn-amd-amdhsa--gfx906"
	.amdhsa_code_object_version 6
	.protected	fft_rtc_fwd_len432_factors_3_16_3_3_wgs_54_tpt_27_halfLds_sp_op_CI_CI_unitstride_sbrr_dirReg ; -- Begin function fft_rtc_fwd_len432_factors_3_16_3_3_wgs_54_tpt_27_halfLds_sp_op_CI_CI_unitstride_sbrr_dirReg
	.globl	fft_rtc_fwd_len432_factors_3_16_3_3_wgs_54_tpt_27_halfLds_sp_op_CI_CI_unitstride_sbrr_dirReg
	.p2align	8
	.type	fft_rtc_fwd_len432_factors_3_16_3_3_wgs_54_tpt_27_halfLds_sp_op_CI_CI_unitstride_sbrr_dirReg,@function
fft_rtc_fwd_len432_factors_3_16_3_3_wgs_54_tpt_27_halfLds_sp_op_CI_CI_unitstride_sbrr_dirReg: ; @fft_rtc_fwd_len432_factors_3_16_3_3_wgs_54_tpt_27_halfLds_sp_op_CI_CI_unitstride_sbrr_dirReg
; %bb.0:
	s_load_dwordx4 s[12:15], s[4:5], 0x58
	s_load_dwordx4 s[8:11], s[4:5], 0x0
	;; [unrolled: 1-line block ×3, first 2 shown]
	v_mul_u32_u24_e32 v1, 0x97c, v0
	v_lshrrev_b32_e32 v12, 16, v1
	v_mov_b32_e32 v8, 0
	s_waitcnt lgkmcnt(0)
	v_cmp_lt_u64_e64 s[0:1], s[10:11], 2
	v_mov_b32_e32 v1, 0
	v_lshl_add_u32 v10, s6, 1, v12
	v_mov_b32_e32 v11, v8
	s_and_b64 vcc, exec, s[0:1]
	v_mov_b32_e32 v2, 0
	s_cbranch_vccnz .LBB0_8
; %bb.1:
	s_load_dwordx2 s[0:1], s[4:5], 0x10
	s_add_u32 s2, s18, 8
	s_addc_u32 s3, s19, 0
	s_add_u32 s6, s16, 8
	v_mov_b32_e32 v1, 0
	s_addc_u32 s7, s17, 0
	v_mov_b32_e32 v2, 0
	s_waitcnt lgkmcnt(0)
	s_add_u32 s20, s0, 8
	v_mov_b32_e32 v5, v2
	s_addc_u32 s21, s1, 0
	s_mov_b64 s[22:23], 1
	v_mov_b32_e32 v4, v1
.LBB0_2:                                ; =>This Inner Loop Header: Depth=1
	s_load_dwordx2 s[24:25], s[20:21], 0x0
                                        ; implicit-def: $vgpr6_vgpr7
	s_waitcnt lgkmcnt(0)
	v_or_b32_e32 v9, s25, v11
	v_cmp_ne_u64_e32 vcc, 0, v[8:9]
	s_and_saveexec_b64 s[0:1], vcc
	s_xor_b64 s[26:27], exec, s[0:1]
	s_cbranch_execz .LBB0_4
; %bb.3:                                ;   in Loop: Header=BB0_2 Depth=1
	v_cvt_f32_u32_e32 v3, s24
	v_cvt_f32_u32_e32 v6, s25
	s_sub_u32 s0, 0, s24
	s_subb_u32 s1, 0, s25
	v_mac_f32_e32 v3, 0x4f800000, v6
	v_rcp_f32_e32 v3, v3
	v_mul_f32_e32 v3, 0x5f7ffffc, v3
	v_mul_f32_e32 v6, 0x2f800000, v3
	v_trunc_f32_e32 v6, v6
	v_mac_f32_e32 v3, 0xcf800000, v6
	v_cvt_u32_f32_e32 v6, v6
	v_cvt_u32_f32_e32 v3, v3
	v_mul_lo_u32 v7, s0, v6
	v_mul_hi_u32 v9, s0, v3
	v_mul_lo_u32 v14, s1, v3
	v_mul_lo_u32 v13, s0, v3
	v_add_u32_e32 v7, v9, v7
	v_add_u32_e32 v7, v7, v14
	v_mul_hi_u32 v9, v3, v13
	v_mul_lo_u32 v14, v3, v7
	v_mul_hi_u32 v16, v3, v7
	v_mul_hi_u32 v15, v6, v13
	v_mul_lo_u32 v13, v6, v13
	v_mul_hi_u32 v17, v6, v7
	v_add_co_u32_e32 v9, vcc, v9, v14
	v_addc_co_u32_e32 v14, vcc, 0, v16, vcc
	v_mul_lo_u32 v7, v6, v7
	v_add_co_u32_e32 v9, vcc, v9, v13
	v_addc_co_u32_e32 v9, vcc, v14, v15, vcc
	v_addc_co_u32_e32 v13, vcc, 0, v17, vcc
	v_add_co_u32_e32 v7, vcc, v9, v7
	v_addc_co_u32_e32 v9, vcc, 0, v13, vcc
	v_add_co_u32_e32 v3, vcc, v3, v7
	v_addc_co_u32_e32 v6, vcc, v6, v9, vcc
	v_mul_lo_u32 v7, s0, v6
	v_mul_hi_u32 v9, s0, v3
	v_mul_lo_u32 v13, s1, v3
	v_mul_lo_u32 v14, s0, v3
	v_add_u32_e32 v7, v9, v7
	v_add_u32_e32 v7, v7, v13
	v_mul_lo_u32 v15, v3, v7
	v_mul_hi_u32 v16, v3, v14
	v_mul_hi_u32 v17, v3, v7
	;; [unrolled: 1-line block ×3, first 2 shown]
	v_mul_lo_u32 v14, v6, v14
	v_mul_hi_u32 v9, v6, v7
	v_add_co_u32_e32 v15, vcc, v16, v15
	v_addc_co_u32_e32 v16, vcc, 0, v17, vcc
	v_mul_lo_u32 v7, v6, v7
	v_add_co_u32_e32 v14, vcc, v15, v14
	v_addc_co_u32_e32 v13, vcc, v16, v13, vcc
	v_addc_co_u32_e32 v9, vcc, 0, v9, vcc
	v_add_co_u32_e32 v7, vcc, v13, v7
	v_addc_co_u32_e32 v9, vcc, 0, v9, vcc
	v_add_co_u32_e32 v3, vcc, v3, v7
	v_addc_co_u32_e32 v9, vcc, v6, v9, vcc
	v_mad_u64_u32 v[6:7], s[0:1], v10, v9, 0
	v_mul_hi_u32 v13, v10, v3
	v_add_co_u32_e32 v15, vcc, v13, v6
	v_addc_co_u32_e32 v16, vcc, 0, v7, vcc
	v_mad_u64_u32 v[6:7], s[0:1], v11, v3, 0
	v_mad_u64_u32 v[13:14], s[0:1], v11, v9, 0
	v_add_co_u32_e32 v3, vcc, v15, v6
	v_addc_co_u32_e32 v3, vcc, v16, v7, vcc
	v_addc_co_u32_e32 v6, vcc, 0, v14, vcc
	v_add_co_u32_e32 v3, vcc, v3, v13
	v_addc_co_u32_e32 v9, vcc, 0, v6, vcc
	v_mul_lo_u32 v13, s25, v3
	v_mul_lo_u32 v14, s24, v9
	v_mad_u64_u32 v[6:7], s[0:1], s24, v3, 0
	v_add3_u32 v7, v7, v14, v13
	v_sub_u32_e32 v13, v11, v7
	v_mov_b32_e32 v14, s25
	v_sub_co_u32_e32 v6, vcc, v10, v6
	v_subb_co_u32_e64 v13, s[0:1], v13, v14, vcc
	v_subrev_co_u32_e64 v14, s[0:1], s24, v6
	v_subbrev_co_u32_e64 v13, s[0:1], 0, v13, s[0:1]
	v_cmp_le_u32_e64 s[0:1], s25, v13
	v_cndmask_b32_e64 v15, 0, -1, s[0:1]
	v_cmp_le_u32_e64 s[0:1], s24, v14
	v_cndmask_b32_e64 v14, 0, -1, s[0:1]
	v_cmp_eq_u32_e64 s[0:1], s25, v13
	v_cndmask_b32_e64 v13, v15, v14, s[0:1]
	v_add_co_u32_e64 v14, s[0:1], 2, v3
	v_addc_co_u32_e64 v15, s[0:1], 0, v9, s[0:1]
	v_add_co_u32_e64 v16, s[0:1], 1, v3
	v_addc_co_u32_e64 v17, s[0:1], 0, v9, s[0:1]
	v_subb_co_u32_e32 v7, vcc, v11, v7, vcc
	v_cmp_ne_u32_e64 s[0:1], 0, v13
	v_cmp_le_u32_e32 vcc, s25, v7
	v_cndmask_b32_e64 v13, v17, v15, s[0:1]
	v_cndmask_b32_e64 v15, 0, -1, vcc
	v_cmp_le_u32_e32 vcc, s24, v6
	v_cndmask_b32_e64 v6, 0, -1, vcc
	v_cmp_eq_u32_e32 vcc, s25, v7
	v_cndmask_b32_e32 v6, v15, v6, vcc
	v_cmp_ne_u32_e32 vcc, 0, v6
	v_cndmask_b32_e64 v6, v16, v14, s[0:1]
	v_cndmask_b32_e32 v7, v9, v13, vcc
	v_cndmask_b32_e32 v6, v3, v6, vcc
.LBB0_4:                                ;   in Loop: Header=BB0_2 Depth=1
	s_andn2_saveexec_b64 s[0:1], s[26:27]
	s_cbranch_execz .LBB0_6
; %bb.5:                                ;   in Loop: Header=BB0_2 Depth=1
	v_cvt_f32_u32_e32 v3, s24
	s_sub_i32 s26, 0, s24
	v_rcp_iflag_f32_e32 v3, v3
	v_mul_f32_e32 v3, 0x4f7ffffe, v3
	v_cvt_u32_f32_e32 v3, v3
	v_mul_lo_u32 v6, s26, v3
	v_mul_hi_u32 v6, v3, v6
	v_add_u32_e32 v3, v3, v6
	v_mul_hi_u32 v3, v10, v3
	v_mul_lo_u32 v6, v3, s24
	v_add_u32_e32 v7, 1, v3
	v_sub_u32_e32 v6, v10, v6
	v_subrev_u32_e32 v9, s24, v6
	v_cmp_le_u32_e32 vcc, s24, v6
	v_cndmask_b32_e32 v6, v6, v9, vcc
	v_cndmask_b32_e32 v3, v3, v7, vcc
	v_add_u32_e32 v7, 1, v3
	v_cmp_le_u32_e32 vcc, s24, v6
	v_cndmask_b32_e32 v6, v3, v7, vcc
	v_mov_b32_e32 v7, v8
.LBB0_6:                                ;   in Loop: Header=BB0_2 Depth=1
	s_or_b64 exec, exec, s[0:1]
	v_mul_lo_u32 v3, v7, s24
	v_mul_lo_u32 v9, v6, s25
	v_mad_u64_u32 v[13:14], s[0:1], v6, s24, 0
	s_load_dwordx2 s[0:1], s[6:7], 0x0
	s_load_dwordx2 s[24:25], s[2:3], 0x0
	v_add3_u32 v3, v14, v9, v3
	v_sub_co_u32_e32 v9, vcc, v10, v13
	v_subb_co_u32_e32 v3, vcc, v11, v3, vcc
	s_waitcnt lgkmcnt(0)
	v_mul_lo_u32 v10, s0, v3
	v_mul_lo_u32 v11, s1, v9
	v_mad_u64_u32 v[1:2], s[0:1], s0, v9, v[1:2]
	s_add_u32 s22, s22, 1
	s_addc_u32 s23, s23, 0
	s_add_u32 s2, s2, 8
	v_mul_lo_u32 v3, s24, v3
	v_mul_lo_u32 v13, s25, v9
	v_mad_u64_u32 v[4:5], s[0:1], s24, v9, v[4:5]
	v_add3_u32 v2, v11, v2, v10
	s_addc_u32 s3, s3, 0
	v_mov_b32_e32 v9, s10
	s_add_u32 s6, s6, 8
	v_mov_b32_e32 v10, s11
	s_addc_u32 s7, s7, 0
	v_cmp_ge_u64_e32 vcc, s[22:23], v[9:10]
	s_add_u32 s20, s20, 8
	v_add3_u32 v5, v13, v5, v3
	s_addc_u32 s21, s21, 0
	s_cbranch_vccnz .LBB0_9
; %bb.7:                                ;   in Loop: Header=BB0_2 Depth=1
	v_mov_b32_e32 v11, v7
	v_mov_b32_e32 v10, v6
	s_branch .LBB0_2
.LBB0_8:
	v_mov_b32_e32 v5, v2
	v_mov_b32_e32 v6, v10
	;; [unrolled: 1-line block ×4, first 2 shown]
.LBB0_9:
	s_load_dwordx2 s[2:3], s[4:5], 0x28
	s_lshl_b64 s[6:7], s[10:11], 3
	s_add_u32 s4, s18, s6
	s_addc_u32 s5, s19, s7
                                        ; implicit-def: $vgpr45
	s_waitcnt lgkmcnt(0)
	v_cmp_gt_u64_e64 s[0:1], s[2:3], v[6:7]
	v_cmp_le_u64_e32 vcc, s[2:3], v[6:7]
	s_and_saveexec_b64 s[2:3], vcc
	s_xor_b64 s[2:3], exec, s[2:3]
; %bb.10:
	s_mov_b32 s10, 0x97b425f
	v_mul_hi_u32 v1, v0, s10
	v_mul_u32_u24_e32 v1, 27, v1
	v_sub_u32_e32 v45, v0, v1
                                        ; implicit-def: $vgpr0
                                        ; implicit-def: $vgpr1_vgpr2
; %bb.11:
	s_or_saveexec_b64 s[2:3], s[2:3]
	s_load_dwordx2 s[4:5], s[4:5], 0x0
                                        ; implicit-def: $vgpr3
                                        ; implicit-def: $vgpr42
                                        ; implicit-def: $vgpr44
                                        ; implicit-def: $vgpr14
                                        ; implicit-def: $vgpr36
                                        ; implicit-def: $vgpr40
                                        ; implicit-def: $vgpr16
                                        ; implicit-def: $vgpr28
                                        ; implicit-def: $vgpr38
                                        ; implicit-def: $vgpr18
                                        ; implicit-def: $vgpr11
                                        ; implicit-def: $vgpr34
                                        ; implicit-def: $vgpr20
                                        ; implicit-def: $vgpr30
                                        ; implicit-def: $vgpr32
                                        ; implicit-def: $vgpr26
                                        ; implicit-def: $vgpr24
                                        ; implicit-def: $vgpr22
	s_xor_b64 exec, exec, s[2:3]
	s_cbranch_execz .LBB0_15
; %bb.12:
	s_add_u32 s6, s16, s6
	s_addc_u32 s7, s17, s7
	s_load_dwordx2 s[6:7], s[6:7], 0x0
	s_mov_b32 s10, 0x97b425f
	v_mul_hi_u32 v3, v0, s10
                                        ; implicit-def: $vgpr21
                                        ; implicit-def: $vgpr23
                                        ; implicit-def: $vgpr25
	s_waitcnt lgkmcnt(0)
	v_mul_lo_u32 v10, s7, v6
	v_mul_lo_u32 v11, s6, v7
	v_mad_u64_u32 v[8:9], s[6:7], s6, v6, 0
	v_mul_u32_u24_e32 v3, 27, v3
	v_sub_u32_e32 v45, v0, v3
	v_add3_u32 v9, v9, v11, v10
	v_lshlrev_b64 v[8:9], 3, v[8:9]
	v_mov_b32_e32 v0, s13
	v_add_co_u32_e32 v3, vcc, s12, v8
	v_addc_co_u32_e32 v8, vcc, v0, v9, vcc
	v_lshlrev_b64 v[0:1], 3, v[1:2]
	v_lshlrev_b32_e32 v2, 3, v45
	v_add_co_u32_e32 v0, vcc, v3, v0
	v_addc_co_u32_e32 v1, vcc, v8, v1, vcc
	v_add_co_u32_e32 v0, vcc, v0, v2
	v_addc_co_u32_e32 v1, vcc, 0, v1, vcc
	global_load_dwordx2 v[27:28], v[0:1], off offset:1584
	global_load_dwordx2 v[2:3], v[0:1], off
	global_load_dwordx2 v[13:14], v[0:1], off offset:216
	global_load_dwordx2 v[15:16], v[0:1], off offset:432
	global_load_dwordx2 v[17:18], v[0:1], off offset:648
	global_load_dwordx2 v[10:11], v[0:1], off offset:1800
	global_load_dwordx2 v[35:36], v[0:1], off offset:1368
	global_load_dwordx2 v[41:42], v[0:1], off offset:1152
	global_load_dwordx2 v[19:20], v[0:1], off offset:864
	global_load_dwordx2 v[39:40], v[0:1], off offset:2520
	global_load_dwordx2 v[43:44], v[0:1], off offset:2304
	global_load_dwordx2 v[29:30], v[0:1], off offset:2016
	global_load_dwordx2 v[37:38], v[0:1], off offset:2736
	global_load_dwordx2 v[33:34], v[0:1], off offset:2952
	global_load_dwordx2 v[31:32], v[0:1], off offset:3168
	v_cmp_gt_u32_e32 vcc, 9, v45
	s_and_saveexec_b64 s[6:7], vcc
	s_cbranch_execz .LBB0_14
; %bb.13:
	global_load_dwordx2 v[21:22], v[0:1], off offset:1080
	global_load_dwordx2 v[23:24], v[0:1], off offset:2232
	;; [unrolled: 1-line block ×3, first 2 shown]
.LBB0_14:
	s_or_b64 exec, exec, s[6:7]
.LBB0_15:
	s_or_b64 exec, exec, s[2:3]
	v_and_b32_e32 v0, 1, v12
	v_cmp_eq_u32_e32 vcc, 1, v0
	s_waitcnt vmcnt(7)
	v_add_f32_e32 v0, v2, v41
	s_waitcnt vmcnt(4)
	v_add_f32_e32 v8, v0, v43
	v_add_f32_e32 v0, v41, v43
	v_mov_b32_e32 v1, 0x1b0
	v_fmac_f32_e32 v2, -0.5, v0
	v_cndmask_b32_e32 v1, 0, v1, vcc
	v_sub_f32_e32 v0, v42, v44
	v_mov_b32_e32 v9, v2
	v_fmac_f32_e32 v9, 0x3f5db3d7, v0
	v_fmac_f32_e32 v2, 0xbf5db3d7, v0
	v_add_f32_e32 v0, v35, v39
	v_mad_u32_u24 v47, v45, 12, 0
	v_lshlrev_b32_e32 v46, 2, v1
	v_add_f32_e32 v12, v13, v35
	v_fmac_f32_e32 v13, -0.5, v0
	v_add_u32_e32 v0, v47, v46
	ds_write2_b32 v0, v8, v9 offset1:1
	v_sub_f32_e32 v8, v36, v40
	v_mov_b32_e32 v9, v13
	s_waitcnt vmcnt(2)
	v_add_f32_e32 v48, v27, v37
	v_fmac_f32_e32 v9, 0x3f5db3d7, v8
	v_fmac_f32_e32 v13, 0xbf5db3d7, v8
	v_add_f32_e32 v8, v15, v27
	v_fmac_f32_e32 v15, -0.5, v48
	v_add_f32_e32 v12, v12, v39
	ds_write2_b32 v0, v12, v9 offset0:81 offset1:82
	v_sub_f32_e32 v9, v28, v38
	v_mov_b32_e32 v12, v15
	s_waitcnt vmcnt(1)
	v_add_f32_e32 v48, v10, v33
	v_fmac_f32_e32 v12, 0x3f5db3d7, v9
	v_fmac_f32_e32 v15, 0xbf5db3d7, v9
	v_add_f32_e32 v9, v17, v10
	v_fmac_f32_e32 v17, -0.5, v48
	v_add_f32_e32 v8, v8, v37
	ds_write2_b32 v0, v8, v12 offset0:162 offset1:163
	;; [unrolled: 10-line block ×3, first 2 shown]
	v_sub_f32_e32 v9, v30, v32
	v_mov_b32_e32 v12, v19
	v_fmac_f32_e32 v12, 0x3f5db3d7, v9
	v_fmac_f32_e32 v19, 0xbf5db3d7, v9
	v_add_f32_e32 v9, v25, v23
	v_fma_f32 v48, -0.5, v9, v21
	v_sub_f32_e32 v49, v24, v26
	v_mov_b32_e32 v9, v48
	v_add_f32_e32 v50, v8, v31
	v_add_u32_e32 v8, 0x510, v47
	v_fmac_f32_e32 v9, 0x3f5db3d7, v49
	v_fmac_f32_e32 v48, 0xbf5db3d7, v49
	v_add_u32_e32 v49, v8, v46
	ds_write_b32 v49, v50
	ds_write2_b32 v0, v2, v13 offset0:2 offset1:83
	ds_write2_b32 v0, v15, v17 offset0:164 offset1:245
	;; [unrolled: 1-line block ×3, first 2 shown]
	v_cmp_gt_u32_e32 vcc, 9, v45
	v_add_u32_e32 v50, 0x144, v0
	v_add_u32_e32 v15, 0x288, v0
	v_add_u32_e32 v2, 0x3cc, v0
	s_and_saveexec_b64 s[2:3], vcc
	s_cbranch_execz .LBB0_17
; %bb.16:
	v_add_f32_e32 v12, v23, v21
	v_add_f32_e32 v12, v25, v12
	v_lshl_add_u32 v1, v1, 2, v8
	ds_write_b32 v1, v12 offset:324
	ds_write2_b32 v1, v9, v48 offset0:82 offset1:83
.LBB0_17:
	s_or_b64 exec, exec, s[2:3]
	v_add_f32_e32 v8, v42, v44
	v_add_f32_e32 v1, v3, v42
	v_fmac_f32_e32 v3, -0.5, v8
	v_sub_f32_e32 v8, v41, v43
	v_mov_b32_e32 v21, v3
	v_fmac_f32_e32 v21, 0xbf5db3d7, v8
	v_fmac_f32_e32 v3, 0x3f5db3d7, v8
	v_add_f32_e32 v8, v14, v36
	v_add_f32_e32 v41, v8, v40
	v_add_f32_e32 v8, v36, v40
	v_fmac_f32_e32 v14, -0.5, v8
	v_sub_f32_e32 v8, v35, v39
	v_mov_b32_e32 v42, v14
	v_fmac_f32_e32 v42, 0xbf5db3d7, v8
	v_fmac_f32_e32 v14, 0x3f5db3d7, v8
	v_add_f32_e32 v8, v16, v28
	;; [unrolled: 8-line block ×5, first 2 shown]
	v_fma_f32 v40, -0.5, v8, v22
	v_sub_f32_e32 v8, v23, v25
	v_mov_b32_e32 v11, v40
	v_fmac_f32_e32 v11, 0xbf5db3d7, v8
	v_fmac_f32_e32 v40, 0x3f5db3d7, v8
	v_lshlrev_b32_e32 v8, 2, v45
	v_add3_u32 v39, 0, v46, v8
	v_add_u32_e32 v8, 0, v8
	v_add_u32_e32 v47, v8, v46
	v_add_u32_e32 v17, 0x200, v47
	v_add_u32_e32 v10, 0x400, v47
	s_waitcnt lgkmcnt(0)
	; wave barrier
	s_waitcnt lgkmcnt(0)
	ds_read2_b32 v[37:38], v47 offset0:27 offset1:54
	ds_read2_b32 v[35:36], v47 offset0:81 offset1:108
	;; [unrolled: 1-line block ×7, first 2 shown]
	ds_read_b32 v8, v39
	ds_read_b32 v19, v47 offset:1620
	v_add_f32_e32 v1, v1, v44
	v_add_u32_e32 v44, 0x87, v45
	s_waitcnt lgkmcnt(0)
	; wave barrier
	s_waitcnt lgkmcnt(0)
	ds_write2_b32 v0, v1, v21 offset1:1
	ds_write_b32 v0, v3 offset:8
	ds_write2_b32 v50, v41, v42 offset1:1
	ds_write_b32 v50, v14 offset:8
	;; [unrolled: 2-line block ×4, first 2 shown]
	ds_write_b32 v49, v54
	ds_write2_b32 v49, v55, v20 offset0:1 offset1:2
	s_and_saveexec_b64 s[2:3], vcc
	s_cbranch_execz .LBB0_19
; %bb.18:
	v_add_f32_e32 v0, v24, v22
	v_mul_u32_u24_e32 v1, 12, v44
	v_add_f32_e32 v0, v26, v0
	v_add3_u32 v1, 0, v1, v46
	ds_write2_b32 v1, v0, v11 offset1:1
	ds_write_b32 v1, v40 offset:8
.LBB0_19:
	s_or_b64 exec, exec, s[2:3]
	s_movk_i32 s2, 0xab
	v_mul_lo_u16_sdwa v0, v45, s2 dst_sel:DWORD dst_unused:UNUSED_PAD src0_sel:BYTE_0 src1_sel:DWORD
	v_lshrrev_b16_e32 v16, 9, v0
	v_mul_lo_u16_e32 v0, 3, v16
	v_sub_u16_e32 v18, v45, v0
	v_mov_b32_e32 v0, 15
	v_mul_u32_u24_sdwa v0, v18, v0 dst_sel:DWORD dst_unused:UNUSED_PAD src0_sel:BYTE_0 src1_sel:DWORD
	v_lshlrev_b32_e32 v14, 3, v0
	s_waitcnt lgkmcnt(0)
	; wave barrier
	s_waitcnt lgkmcnt(0)
	global_load_dwordx4 v[20:23], v14, s[8:9]
	global_load_dwordx4 v[49:52], v14, s[8:9] offset:16
	global_load_dwordx4 v[53:56], v14, s[8:9] offset:32
	;; [unrolled: 1-line block ×6, first 2 shown]
	global_load_dwordx2 v[24:25], v14, s[8:9] offset:112
	ds_read2_b32 v[69:70], v47 offset0:27 offset1:54
	ds_read2_b32 v[71:72], v47 offset0:81 offset1:108
	;; [unrolled: 1-line block ×7, first 2 shown]
	ds_read_b32 v26, v47 offset:1620
	ds_read_b32 v42, v39
	v_mul_u32_u24_e32 v16, 48, v16
	v_or_b32_sdwa v16, v16, v18 dst_sel:DWORD dst_unused:UNUSED_PAD src0_sel:DWORD src1_sel:BYTE_0
	v_lshlrev_b32_e32 v16, 2, v16
	s_waitcnt lgkmcnt(0)
	; wave barrier
	s_waitcnt vmcnt(7) lgkmcnt(0)
	v_mul_f32_e32 v41, v69, v21
	v_mul_f32_e32 v21, v37, v21
	;; [unrolled: 1-line block ×4, first 2 shown]
	s_waitcnt vmcnt(6)
	v_mul_f32_e32 v82, v71, v50
	v_mul_f32_e32 v50, v35, v50
	;; [unrolled: 1-line block ×4, first 2 shown]
	v_fma_f32 v37, v37, v20, -v41
	v_fma_f32 v38, v38, v22, -v81
	s_waitcnt vmcnt(5)
	v_mul_f32_e32 v41, v73, v54
	v_mul_f32_e32 v52, v33, v54
	v_fmac_f32_e32 v21, v69, v20
	v_fmac_f32_e32 v23, v70, v22
	v_mul_f32_e32 v20, v74, v56
	v_mul_f32_e32 v22, v34, v56
	s_waitcnt vmcnt(4)
	v_mul_f32_e32 v54, v75, v58
	v_mul_f32_e32 v56, v31, v58
	;; [unrolled: 1-line block ×4, first 2 shown]
	v_fma_f32 v35, v35, v49, -v82
	v_fmac_f32_e32 v50, v71, v49
	s_waitcnt vmcnt(3)
	v_mul_f32_e32 v49, v78, v64
	v_fma_f32 v36, v36, v51, -v83
	v_fmac_f32_e32 v43, v72, v51
	v_mul_f32_e32 v51, v30, v64
	s_waitcnt vmcnt(2)
	v_mul_f32_e32 v64, v79, v66
	v_mul_f32_e32 v66, v27, v66
	;; [unrolled: 1-line block ×4, first 2 shown]
	v_fma_f32 v33, v33, v53, -v41
	v_fma_f32 v20, v34, v55, -v20
	s_waitcnt vmcnt(1)
	v_mul_f32_e32 v34, v14, v1
	v_mul_f32_e32 v1, v12, v1
	v_mul_f32_e32 v41, v15, v3
	v_fmac_f32_e32 v60, v76, v59
	v_fma_f32 v30, v30, v63, -v49
	v_fmac_f32_e32 v52, v73, v53
	v_fmac_f32_e32 v22, v74, v55
	s_waitcnt vmcnt(0)
	v_mul_f32_e32 v53, v26, v25
	v_mul_f32_e32 v25, v19, v25
	v_fma_f32 v32, v32, v59, -v58
	v_fmac_f32_e32 v56, v75, v57
	v_fmac_f32_e32 v51, v78, v63
	v_fma_f32 v49, v28, v67, -v70
	v_fmac_f32_e32 v66, v79, v65
	v_fmac_f32_e32 v68, v80, v67
	v_fma_f32 v34, v12, v0, -v34
	v_fmac_f32_e32 v1, v14, v0
	v_fma_f32 v0, v13, v2, -v41
	v_sub_f32_e32 v12, v36, v30
	v_sub_f32_e32 v30, v23, v60
	v_mul_f32_e32 v69, v77, v62
	v_fma_f32 v19, v19, v24, -v53
	v_fmac_f32_e32 v25, v26, v24
	v_sub_f32_e32 v0, v8, v0
	v_sub_f32_e32 v14, v43, v51
	;; [unrolled: 1-line block ×3, first 2 shown]
	v_fma_f32 v26, v36, 2.0, -v12
	v_fma_f32 v28, v23, 2.0, -v30
	v_sub_f32_e32 v23, v20, v49
	v_sub_f32_e32 v36, v22, v68
	;; [unrolled: 1-line block ×4, first 2 shown]
	v_mul_f32_e32 v62, v29, v62
	v_fma_f32 v31, v31, v57, -v54
	v_fma_f32 v29, v29, v61, -v69
	v_fma_f32 v27, v27, v65, -v64
	v_fma_f32 v32, v38, 2.0, -v24
	v_fma_f32 v20, v20, 2.0, -v23
	;; [unrolled: 1-line block ×5, first 2 shown]
	v_sub_f32_e32 v55, v0, v14
	v_fma_f32 v8, v8, 2.0, -v0
	v_sub_f32_e32 v38, v37, v31
	v_sub_f32_e32 v27, v33, v27
	;; [unrolled: 1-line block ×3, first 2 shown]
	v_fma_f32 v0, v0, 2.0, -v55
	v_sub_f32_e32 v29, v32, v20
	v_sub_f32_e32 v31, v28, v22
	;; [unrolled: 1-line block ×3, first 2 shown]
	v_add_f32_e32 v23, v30, v23
	v_sub_f32_e32 v57, v21, v51
	v_fmac_f32_e32 v62, v77, v61
	v_fma_f32 v37, v37, 2.0, -v38
	v_fma_f32 v33, v33, 2.0, -v27
	v_sub_f32_e32 v19, v34, v19
	v_sub_f32_e32 v25, v1, v25
	v_fma_f32 v20, v32, 2.0, -v29
	v_fma_f32 v24, v24, 2.0, -v22
	;; [unrolled: 1-line block ×4, first 2 shown]
	v_sub_f32_e32 v21, v38, v49
	v_mov_b32_e32 v60, v0
	v_sub_f32_e32 v53, v50, v62
	v_fma_f32 v35, v35, 2.0, -v52
	v_fma_f32 v34, v34, 2.0, -v19
	;; [unrolled: 1-line block ×3, first 2 shown]
	v_sub_f32_e32 v56, v37, v33
	v_add_f32_e32 v27, v41, v27
	v_fma_f32 v49, v38, 2.0, -v21
	v_sub_f32_e32 v25, v52, v25
	v_fmac_f32_e32 v60, 0xbf3504f3, v24
	v_fma_f32 v58, v37, 2.0, -v56
	v_fma_f32 v41, v41, 2.0, -v27
	v_sub_f32_e32 v59, v35, v34
	v_add_f32_e32 v19, v53, v19
	v_fma_f32 v34, v52, 2.0, -v25
	v_mul_f32_e32 v37, 0x3f3504f3, v32
	v_fmac_f32_e32 v60, 0xbf3504f3, v32
	v_mov_b32_e32 v32, v49
	v_fma_f32 v36, v53, 2.0, -v19
	v_fmac_f32_e32 v32, 0xbf3504f3, v34
	v_mov_b32_e32 v33, v41
	v_fmac_f32_e32 v33, 0xbf3504f3, v36
	v_fmac_f32_e32 v32, 0xbf3504f3, v36
	v_mov_b32_e32 v36, v27
	v_fmac_f32_e32 v33, 0x3f3504f3, v34
	v_mov_b32_e32 v34, v21
	v_fmac_f32_e32 v36, 0x3f3504f3, v19
	v_fma_f32 v50, v50, 2.0, -v53
	v_fmac_f32_e32 v34, 0x3f3504f3, v25
	v_fmac_f32_e32 v36, 0x3f3504f3, v25
	v_mov_b32_e32 v25, v55
	v_sub_f32_e32 v26, v8, v26
	v_sub_f32_e32 v1, v50, v1
	v_fmac_f32_e32 v25, 0x3f3504f3, v22
	v_fma_f32 v8, v8, 2.0, -v26
	v_fma_f32 v38, v35, 2.0, -v59
	;; [unrolled: 1-line block ×4, first 2 shown]
	v_fmac_f32_e32 v25, 0xbf3504f3, v23
	v_sub_f32_e32 v20, v8, v20
	v_mul_f32_e32 v51, 0x3f3504f3, v22
	v_fma_f32 v22, v55, 2.0, -v25
	v_sub_f32_e32 v38, v58, v38
	v_sub_f32_e32 v55, v30, v50
	v_fma_f32 v50, v49, 2.0, -v32
	v_mov_b32_e32 v18, v0
	v_fma_f32 v8, v8, 2.0, -v20
	v_mul_f32_e32 v54, 0x3f3504f3, v23
	v_fma_f32 v23, v58, 2.0, -v38
	v_fma_f32 v53, v41, 2.0, -v33
	v_fmac_f32_e32 v18, 0xbf6c835e, v50
	v_fmac_f32_e32 v34, 0xbf3504f3, v19
	v_sub_f32_e32 v19, v26, v31
	v_sub_f32_e32 v61, v56, v1
	v_sub_f32_e32 v1, v8, v23
	v_fmac_f32_e32 v18, 0xbec3ef15, v53
	v_mul_f32_e32 v35, 0x3f3504f3, v24
	v_fma_f32 v24, v26, 2.0, -v19
	v_fma_f32 v58, v56, 2.0, -v61
	;; [unrolled: 1-line block ×4, first 2 shown]
	v_add3_u32 v56, 0, v16, v46
	v_add_f32_e32 v62, v57, v59
	v_fma_f32 v49, v21, 2.0, -v34
	ds_write2_b32 v56, v8, v0 offset1:3
	v_mov_b32_e32 v0, v24
	v_mov_b32_e32 v16, v22
	v_fma_f32 v57, v57, 2.0, -v62
	v_fma_f32 v52, v27, 2.0, -v36
	v_fmac_f32_e32 v0, 0xbf3504f3, v58
	v_fmac_f32_e32 v16, 0xbec3ef15, v49
	;; [unrolled: 1-line block ×4, first 2 shown]
	v_fma_f32 v8, v24, 2.0, -v0
	v_fma_f32 v21, v22, 2.0, -v16
	ds_write2_b32 v56, v8, v21 offset0:6 offset1:9
	v_sub_f32_e32 v21, v20, v55
	v_fma_f32 v8, v20, 2.0, -v21
	v_mov_b32_e32 v20, v60
	v_fmac_f32_e32 v20, 0x3ec3ef15, v32
	v_fmac_f32_e32 v20, 0xbf6c835e, v33
	v_fma_f32 v22, v60, 2.0, -v20
	ds_write2_b32 v56, v8, v22 offset0:12 offset1:15
	v_mov_b32_e32 v22, v19
	v_mov_b32_e32 v8, v25
	v_fmac_f32_e32 v22, 0x3f3504f3, v61
	v_fmac_f32_e32 v8, 0x3f6c835e, v34
	v_fmac_f32_e32 v22, 0xbf3504f3, v62
	v_fmac_f32_e32 v8, 0xbec3ef15, v36
	v_fma_f32 v19, v19, 2.0, -v22
	v_fma_f32 v23, v25, 2.0, -v8
	ds_write2_b32 v56, v19, v23 offset0:18 offset1:21
	ds_write2_b32 v56, v1, v18 offset0:24 offset1:27
	;; [unrolled: 1-line block ×5, first 2 shown]
	s_waitcnt lgkmcnt(0)
	; wave barrier
	s_waitcnt lgkmcnt(0)
	ds_read_b32 v41, v39
	ds_read2_b32 v[22:23], v47 offset0:144 offset1:171
	ds_read2_b32 v[0:1], v17 offset0:124 offset1:160
	ds_read2_b32 v[18:19], v47 offset0:27 offset1:54
	ds_read2_b32 v[26:27], v10 offset0:59 offset1:86
	ds_read2_b32 v[24:25], v47 offset0:198 offset1:225
	ds_read2_b32 v[20:21], v10 offset0:113 offset1:140
	ds_read2_b32 v[16:17], v47 offset0:81 offset1:108
	v_mul_f32_e32 v58, 0x3f3504f3, v58
	v_mul_f32_e32 v59, 0x3f3504f3, v57
	;; [unrolled: 1-line block ×4, first 2 shown]
	s_and_saveexec_b64 s[2:3], vcc
	s_cbranch_execz .LBB0_21
; %bb.20:
	v_add_u32_e32 v8, 0x200, v47
	ds_read2_b32 v[8:9], v8 offset0:7 offset1:151
	ds_read_b32 v48, v47 offset:1692
.LBB0_21:
	s_or_b64 exec, exec, s[2:3]
	v_mul_f32_e32 v3, v13, v3
	v_fmac_f32_e32 v3, v15, v2
	v_sub_f32_e32 v2, v42, v3
	v_add_f32_e32 v12, v2, v12
	v_fma_f32 v3, v42, 2.0, -v2
	v_fma_f32 v2, v2, 2.0, -v12
	;; [unrolled: 1-line block ×3, first 2 shown]
	v_sub_f32_e32 v15, v2, v37
	v_sub_f32_e32 v13, v3, v13
	v_add_f32_e32 v15, v35, v15
	v_fma_f32 v14, v28, 2.0, -v31
	v_add_f32_e32 v28, v13, v29
	v_add_f32_e32 v29, v12, v54
	v_mov_b32_e32 v42, v15
	v_fma_f32 v3, v3, 2.0, -v13
	v_fma_f32 v2, v2, 2.0, -v15
	v_add_f32_e32 v29, v51, v29
	v_fmac_f32_e32 v42, 0x3ec3ef15, v33
	v_sub_f32_e32 v14, v3, v14
	v_fma_f32 v12, v12, 2.0, -v29
	v_mov_b32_e32 v31, v2
	v_fmac_f32_e32 v42, 0x3f6c835e, v32
	v_add_f32_e32 v32, v28, v57
	v_fma_f32 v3, v3, 2.0, -v14
	v_fma_f32 v13, v13, 2.0, -v28
	;; [unrolled: 1-line block ×3, first 2 shown]
	v_fmac_f32_e32 v31, 0xbf6c835e, v53
	v_mov_b32_e32 v37, v12
	v_add_f32_e32 v32, v10, v32
	v_mov_b32_e32 v10, v29
	v_sub_f32_e32 v30, v3, v30
	v_fmac_f32_e32 v31, 0x3ec3ef15, v50
	v_sub_f32_e32 v35, v13, v59
	v_fmac_f32_e32 v37, 0xbec3ef15, v52
	v_fmac_f32_e32 v10, 0x3f6c835e, v36
	v_fma_f32 v3, v3, 2.0, -v30
	v_fma_f32 v2, v2, 2.0, -v31
	v_add_f32_e32 v35, v58, v35
	v_fmac_f32_e32 v37, 0x3f6c835e, v49
	v_add_f32_e32 v38, v14, v38
	v_fmac_f32_e32 v10, 0x3ec3ef15, v34
	v_fma_f32 v13, v13, 2.0, -v35
	v_fma_f32 v12, v12, 2.0, -v37
	;; [unrolled: 1-line block ×6, first 2 shown]
	s_waitcnt lgkmcnt(0)
	; wave barrier
	s_waitcnt lgkmcnt(0)
	ds_write2_b32 v56, v3, v2 offset1:3
	ds_write2_b32 v56, v13, v12 offset0:6 offset1:9
	ds_write2_b32 v56, v14, v15 offset0:12 offset1:15
	;; [unrolled: 1-line block ×7, first 2 shown]
	v_add_u32_e32 v2, 0x200, v47
	v_add_u32_e32 v3, 0x400, v47
	s_waitcnt lgkmcnt(0)
	; wave barrier
	s_waitcnt lgkmcnt(0)
	ds_read_b32 v38, v39
	ds_read2_b32 v[32:33], v47 offset0:144 offset1:171
	ds_read2_b32 v[28:29], v2 offset0:124 offset1:160
	;; [unrolled: 1-line block ×7, first 2 shown]
	s_and_saveexec_b64 s[2:3], vcc
	s_cbranch_execz .LBB0_23
; %bb.22:
	ds_read2_b32 v[10:11], v2 offset0:7 offset1:151
	ds_read_b32 v40, v47 offset:1692
.LBB0_23:
	s_or_b64 exec, exec, s[2:3]
	v_lshlrev_b32_e32 v42, 1, v45
	v_mov_b32_e32 v43, 0
	v_lshlrev_b64 v[2:3], 3, v[42:43]
	v_mov_b32_e32 v54, s9
	v_add_co_u32_e64 v2, s[2:3], s8, v2
	v_addc_co_u32_e64 v3, s[2:3], v54, v3, s[2:3]
	v_add_u32_e32 v49, 27, v45
	v_subrev_u32_e32 v52, 21, v45
	v_cmp_gt_u32_e64 s[2:3], 21, v45
	v_add_u32_e32 v42, 12, v42
	v_cndmask_b32_e64 v80, v52, v49, s[2:3]
	v_mov_b32_e32 v53, v43
	v_lshlrev_b64 v[42:43], 3, v[42:43]
	v_lshlrev_b32_e32 v52, 1, v80
	v_lshlrev_b64 v[52:53], 3, v[52:53]
	v_add_co_u32_e64 v42, s[2:3], s8, v42
	v_addc_co_u32_e64 v43, s[2:3], v54, v43, s[2:3]
	global_load_dwordx4 v[60:63], v[42:43], off offset:360
	v_add_co_u32_e64 v42, s[2:3], s8, v52
	v_addc_co_u32_e64 v43, s[2:3], v54, v53, s[2:3]
	v_add_u32_e32 v50, 0x51, v45
	s_movk_i32 s2, 0xab
	global_load_dwordx4 v[64:67], v[42:43], off offset:360
	v_mul_lo_u16_sdwa v42, v50, s2 dst_sel:DWORD dst_unused:UNUSED_PAD src0_sel:BYTE_0 src1_sel:DWORD
	v_lshrrev_b16_e32 v81, 13, v42
	v_mul_lo_u16_e32 v42, 48, v81
	v_sub_u16_e32 v82, v50, v42
	v_mov_b32_e32 v43, 4
	v_add_u32_e32 v51, 0x6c, v45
	v_lshlrev_b32_sdwa v42, v43, v82 dst_sel:DWORD dst_unused:UNUSED_PAD src0_sel:DWORD src1_sel:BYTE_0
	global_load_dwordx4 v[56:59], v[2:3], off offset:360
	global_load_dwordx4 v[68:71], v42, s[8:9] offset:360
	v_mul_lo_u16_sdwa v42, v51, s2 dst_sel:DWORD dst_unused:UNUSED_PAD src0_sel:BYTE_0 src1_sel:DWORD
	v_lshrrev_b16_e32 v42, 13, v42
	v_mul_lo_u16_e32 v42, 48, v42
	v_sub_u16_e32 v83, v51, v42
	v_lshlrev_b32_sdwa v42, v43, v83 dst_sel:DWORD dst_unused:UNUSED_PAD src0_sel:DWORD src1_sel:BYTE_0
	global_load_dwordx4 v[72:75], v42, s[8:9] offset:360
	v_mul_lo_u16_sdwa v42, v44, s2 dst_sel:DWORD dst_unused:UNUSED_PAD src0_sel:BYTE_0 src1_sel:DWORD
	v_lshrrev_b16_e32 v42, 13, v42
	v_mul_lo_u16_e32 v42, 48, v42
	v_sub_u16_e32 v42, v44, v42
	v_lshlrev_b32_sdwa v43, v43, v42 dst_sel:DWORD dst_unused:UNUSED_PAD src0_sel:DWORD src1_sel:BYTE_0
	global_load_dwordx4 v[76:79], v43, s[8:9] offset:360
	s_waitcnt lgkmcnt(0)
	; wave barrier
	s_waitcnt lgkmcnt(0)
	v_cmp_lt_u32_e64 s[2:3], 20, v45
	s_movk_i32 s6, 0x240
	s_waitcnt vmcnt(3)
	v_mul_f32_e32 v43, v32, v57
	v_mul_f32_e32 v55, v22, v57
	;; [unrolled: 1-line block ×4, first 2 shown]
	v_fma_f32 v54, v22, v56, -v43
	v_fmac_f32_e32 v55, v32, v56
	v_fma_f32 v56, v1, v58, -v52
	v_mul_f32_e32 v1, v34, v61
	v_mul_f32_e32 v43, v27, v63
	;; [unrolled: 1-line block ×4, first 2 shown]
	v_fma_f32 v52, v24, v60, -v1
	v_fmac_f32_e32 v43, v37, v62
	s_waitcnt vmcnt(2)
	v_mul_f32_e32 v37, v20, v71
	s_waitcnt vmcnt(1)
	v_mul_f32_e32 v24, v28, v73
	v_fmac_f32_e32 v32, v34, v60
	v_fma_f32 v53, v27, v62, -v22
	v_mul_f32_e32 v22, v30, v71
	v_mul_f32_e32 v60, v0, v73
	v_fmac_f32_e32 v37, v30, v70
	v_fma_f32 v30, v0, v72, -v24
	v_mul_f32_e32 v62, v21, v75
	s_waitcnt vmcnt(0)
	v_mul_f32_e32 v0, v11, v77
	v_mul_f32_e32 v27, v31, v75
	v_fmac_f32_e32 v62, v31, v74
	v_fma_f32 v31, v9, v76, -v0
	v_mul_f32_e32 v0, v40, v79
	v_fmac_f32_e32 v57, v29, v58
	v_mul_f32_e32 v29, v33, v65
	v_mul_f32_e32 v58, v23, v65
	v_fma_f32 v65, v48, v78, -v0
	v_add_f32_e32 v0, v41, v54
	v_fma_f32 v61, v23, v64, -v29
	v_fmac_f32_e32 v58, v33, v64
	v_mul_f32_e32 v64, v9, v77
	v_add_f32_e32 v9, v0, v56
	v_add_f32_e32 v0, v54, v56
	v_fmac_f32_e32 v41, -0.5, v0
	v_mul_f32_e32 v63, v36, v67
	v_fmac_f32_e32 v64, v11, v76
	v_sub_f32_e32 v0, v55, v57
	v_mov_b32_e32 v11, v41
	v_mul_f32_e32 v34, v25, v69
	v_fma_f32 v63, v26, v66, -v63
	v_fmac_f32_e32 v11, 0x3f5db3d7, v0
	v_fmac_f32_e32 v41, 0xbf5db3d7, v0
	v_add_f32_e32 v0, v18, v61
	v_mul_f32_e32 v59, v26, v67
	v_mul_f32_e32 v1, v35, v69
	v_fmac_f32_e32 v34, v35, v68
	v_fma_f32 v35, v20, v70, -v22
	v_add_f32_e32 v20, v0, v63
	v_add_f32_e32 v0, v61, v63
	v_fmac_f32_e32 v59, v36, v66
	v_fma_f32 v18, -0.5, v0, v18
	v_fma_f32 v36, v21, v74, -v27
	v_sub_f32_e32 v0, v58, v59
	v_mov_b32_e32 v21, v18
	v_fmac_f32_e32 v21, 0x3f5db3d7, v0
	v_fmac_f32_e32 v18, 0xbf5db3d7, v0
	v_add_f32_e32 v0, v19, v52
	v_add_f32_e32 v22, v0, v53
	;; [unrolled: 1-line block ×3, first 2 shown]
	v_fmac_f32_e32 v19, -0.5, v0
	v_fma_f32 v33, v25, v68, -v1
	v_sub_f32_e32 v0, v32, v43
	v_mov_b32_e32 v23, v19
	v_fmac_f32_e32 v23, 0x3f5db3d7, v0
	v_fmac_f32_e32 v19, 0xbf5db3d7, v0
	v_add_f32_e32 v0, v16, v33
	v_add_f32_e32 v24, v0, v35
	;; [unrolled: 1-line block ×3, first 2 shown]
	v_fma_f32 v16, -0.5, v0, v16
	v_sub_f32_e32 v0, v34, v37
	v_mov_b32_e32 v25, v16
	ds_write2_b32 v47, v9, v11 offset1:48
	ds_write_b32 v47, v41 offset:384
	v_mov_b32_e32 v9, 0x240
	v_fmac_f32_e32 v25, 0x3f5db3d7, v0
	v_fmac_f32_e32 v16, 0xbf5db3d7, v0
	v_add_f32_e32 v0, v17, v30
	v_cndmask_b32_e64 v9, 0, v9, s[2:3]
	v_mul_f32_e32 v48, v48, v79
	v_add_f32_e32 v26, v0, v36
	v_add_f32_e32 v0, v30, v36
	v_add_u32_e32 v9, 0, v9
	v_lshlrev_b32_e32 v11, 2, v80
	v_fmac_f32_e32 v60, v28, v72
	v_fmac_f32_e32 v48, v40, v78
	v_fmac_f32_e32 v17, -0.5, v0
	v_add3_u32 v40, v9, v11, v46
	v_mov_b32_e32 v9, 2
	v_sub_f32_e32 v0, v60, v62
	v_mov_b32_e32 v27, v17
	v_add_f32_e32 v1, v31, v65
	ds_write2_b32 v40, v20, v21 offset1:48
	ds_write_b32 v40, v18 offset:384
	ds_write2_b32 v47, v22, v23 offset0:150 offset1:198
	ds_write_b32 v47, v19 offset:984
	v_mad_u32_u24 v11, v81, s6, 0
	v_lshlrev_b32_sdwa v18, v9, v82 dst_sel:DWORD dst_unused:UNUSED_PAD src0_sel:DWORD src1_sel:BYTE_0
	v_fmac_f32_e32 v27, 0x3f5db3d7, v0
	v_fmac_f32_e32 v17, 0xbf5db3d7, v0
	v_add_f32_e32 v0, v8, v31
	v_fmac_f32_e32 v8, -0.5, v1
	v_add3_u32 v41, v11, v18, v46
	v_lshlrev_b32_sdwa v11, v9, v83 dst_sel:DWORD dst_unused:UNUSED_PAD src0_sel:DWORD src1_sel:BYTE_0
	v_sub_f32_e32 v28, v64, v48
	v_mov_b32_e32 v1, v8
	v_add3_u32 v66, 0, v11, v46
	v_add_f32_e32 v0, v0, v65
	v_fmac_f32_e32 v1, 0x3f5db3d7, v28
	v_fmac_f32_e32 v8, 0xbf5db3d7, v28
	v_add_u32_e32 v11, 0x400, v66
	ds_write2_b32 v41, v24, v25 offset1:48
	ds_write_b32 v41, v16 offset:384
	ds_write2_b32 v11, v26, v27 offset0:32 offset1:80
	ds_write_b32 v66, v17 offset:1536
	s_and_saveexec_b64 s[2:3], vcc
	s_cbranch_execz .LBB0_25
; %bb.24:
	v_lshlrev_b32_sdwa v9, v9, v42 dst_sel:DWORD dst_unused:UNUSED_PAD src0_sel:DWORD src1_sel:BYTE_0
	v_add3_u32 v9, 0, v9, v46
	v_add_u32_e32 v11, 0x400, v9
	ds_write2_b32 v11, v0, v1 offset0:32 offset1:80
	ds_write_b32 v9, v8 offset:1536
.LBB0_25:
	s_or_b64 exec, exec, s[2:3]
	v_add_u32_e32 v11, 0x200, v47
	v_add_u32_e32 v28, 0x400, v47
	s_waitcnt lgkmcnt(0)
	; wave barrier
	s_waitcnt lgkmcnt(0)
	ds_read_b32 v9, v39
	ds_read2_b32 v[18:19], v47 offset0:144 offset1:171
	ds_read2_b32 v[16:17], v11 offset0:124 offset1:160
	;; [unrolled: 1-line block ×7, first 2 shown]
	v_add_u32_e32 v67, 24, v47
	v_add_u32_e32 v68, 0x300, v47
	s_and_saveexec_b64 s[2:3], vcc
	s_cbranch_execz .LBB0_27
; %bb.26:
	ds_read2_b32 v[0:1], v11 offset0:7 offset1:151
	ds_read_b32 v8, v47 offset:1692
.LBB0_27:
	s_or_b64 exec, exec, s[2:3]
	v_add_f32_e32 v11, v38, v55
	v_add_f32_e32 v69, v11, v57
	;; [unrolled: 1-line block ×3, first 2 shown]
	v_fmac_f32_e32 v38, -0.5, v11
	v_sub_f32_e32 v11, v54, v56
	v_mov_b32_e32 v54, v38
	v_fmac_f32_e32 v54, 0xbf5db3d7, v11
	v_fmac_f32_e32 v38, 0x3f5db3d7, v11
	v_add_f32_e32 v11, v14, v58
	v_add_f32_e32 v55, v11, v59
	;; [unrolled: 1-line block ×3, first 2 shown]
	v_fma_f32 v14, -0.5, v11, v14
	v_sub_f32_e32 v11, v61, v63
	v_mov_b32_e32 v56, v14
	v_fmac_f32_e32 v56, 0xbf5db3d7, v11
	v_fmac_f32_e32 v14, 0x3f5db3d7, v11
	v_add_f32_e32 v11, v15, v32
	v_add_f32_e32 v57, v11, v43
	;; [unrolled: 1-line block ×3, first 2 shown]
	v_fmac_f32_e32 v15, -0.5, v11
	v_sub_f32_e32 v11, v52, v53
	v_mov_b32_e32 v32, v15
	v_fmac_f32_e32 v32, 0xbf5db3d7, v11
	v_fmac_f32_e32 v15, 0x3f5db3d7, v11
	v_add_f32_e32 v11, v12, v34
	v_add_f32_e32 v43, v11, v37
	v_add_f32_e32 v11, v34, v37
	v_fma_f32 v34, -0.5, v11, v12
	v_sub_f32_e32 v11, v33, v35
	v_mov_b32_e32 v33, v34
	v_fmac_f32_e32 v33, 0xbf5db3d7, v11
	v_fmac_f32_e32 v34, 0x3f5db3d7, v11
	v_add_f32_e32 v11, v13, v60
	v_add_f32_e32 v35, v11, v62
	;; [unrolled: 1-line block ×3, first 2 shown]
	v_fmac_f32_e32 v13, -0.5, v11
	v_sub_f32_e32 v11, v30, v36
	v_mov_b32_e32 v30, v13
	v_add_f32_e32 v12, v64, v48
	v_fmac_f32_e32 v30, 0xbf5db3d7, v11
	v_fmac_f32_e32 v13, 0x3f5db3d7, v11
	v_add_f32_e32 v11, v10, v64
	v_fmac_f32_e32 v10, -0.5, v12
	v_sub_f32_e32 v31, v31, v65
	v_mov_b32_e32 v12, v10
	v_add_f32_e32 v11, v11, v48
	v_fmac_f32_e32 v12, 0xbf5db3d7, v31
	v_fmac_f32_e32 v10, 0x3f5db3d7, v31
	s_waitcnt lgkmcnt(0)
	; wave barrier
	s_waitcnt lgkmcnt(0)
	ds_write2_b32 v47, v69, v54 offset1:48
	ds_write_b32 v47, v38 offset:384
	ds_write2_b32 v40, v55, v56 offset1:48
	ds_write_b32 v40, v14 offset:384
	ds_write_b32 v68, v32 offset:24
	ds_write2_b32 v67, v57, v15 offset0:144 offset1:240
	ds_write2_b32 v41, v43, v33 offset1:48
	ds_write_b32 v41, v34 offset:384
	v_add_u32_e32 v14, 0x400, v66
	ds_write2_b32 v14, v35, v30 offset0:32 offset1:80
	ds_write_b32 v66, v13 offset:1536
	s_and_saveexec_b64 s[2:3], vcc
	s_cbranch_execz .LBB0_29
; %bb.28:
	v_mov_b32_e32 v13, 2
	v_lshlrev_b32_sdwa v13, v13, v42 dst_sel:DWORD dst_unused:UNUSED_PAD src0_sel:DWORD src1_sel:BYTE_0
	v_add3_u32 v13, 0, v13, v46
	v_add_u32_e32 v14, 0x400, v13
	ds_write2_b32 v14, v11, v12 offset0:32 offset1:80
	ds_write_b32 v13, v10 offset:1536
.LBB0_29:
	s_or_b64 exec, exec, s[2:3]
	v_add_u32_e32 v13, 0x200, v47
	v_add_u32_e32 v14, 0x400, v47
	s_waitcnt lgkmcnt(0)
	; wave barrier
	s_waitcnt lgkmcnt(0)
	ds_read_b32 v15, v39
	ds_read2_b32 v[32:33], v47 offset0:144 offset1:171
	ds_read2_b32 v[30:31], v13 offset0:124 offset1:160
	;; [unrolled: 1-line block ×7, first 2 shown]
	s_and_saveexec_b64 s[2:3], vcc
	s_cbranch_execz .LBB0_31
; %bb.30:
	ds_read2_b32 v[11:12], v13 offset0:7 offset1:151
	ds_read_b32 v10, v47 offset:1692
.LBB0_31:
	s_or_b64 exec, exec, s[2:3]
	s_and_saveexec_b64 s[2:3], s[0:1]
	s_cbranch_execz .LBB0_34
; %bb.32:
	v_lshlrev_b32_e32 v13, 1, v51
	v_mov_b32_e32 v14, 0
	v_lshlrev_b64 v[46:47], 3, v[13:14]
	v_mov_b32_e32 v48, s9
	v_add_co_u32_e64 v46, s[0:1], s8, v46
	v_addc_co_u32_e64 v47, s[0:1], v48, v47, s[0:1]
	v_lshlrev_b32_e32 v13, 1, v50
	global_load_dwordx4 v[51:54], v[46:47], off offset:1128
	v_lshlrev_b64 v[46:47], 3, v[13:14]
	v_mov_b32_e32 v13, 0x6c
	v_add_co_u32_e64 v46, s[0:1], s8, v46
	v_addc_co_u32_e64 v47, s[0:1], v48, v47, s[0:1]
	global_load_dwordx4 v[55:58], v[46:47], off offset:1128
	v_lshl_add_u32 v13, v45, 1, v13
	v_lshlrev_b64 v[46:47], 3, v[13:14]
	v_lshlrev_b32_e32 v13, 1, v49
	v_add_co_u32_e64 v46, s[0:1], s8, v46
	v_addc_co_u32_e64 v47, s[0:1], v48, v47, s[0:1]
	global_load_dwordx4 v[59:62], v[46:47], off offset:1128
	v_lshlrev_b64 v[46:47], 3, v[13:14]
	v_mul_lo_u32 v50, s5, v6
	v_add_co_u32_e64 v46, s[0:1], s8, v46
	v_addc_co_u32_e64 v47, s[0:1], v48, v47, s[0:1]
	global_load_dwordx4 v[46:49], v[46:47], off offset:1128
	v_mul_lo_u32 v63, s4, v7
	v_mad_u64_u32 v[6:7], s[0:1], s4, v6, 0
	s_mov_b32 s3, 0x38e38e39
	s_movk_i32 s2, 0x90
	v_add3_u32 v7, v7, v63, v50
	global_load_dwordx4 v[63:66], v[2:3], off offset:1128
	v_lshlrev_b64 v[6:7], 3, v[6:7]
	v_lshlrev_b64 v[4:5], 3, v[4:5]
	v_add_co_u32_e64 v6, s[0:1], s14, v6
	s_movk_i32 s4, 0x1b0
	s_waitcnt vmcnt(4) lgkmcnt(5)
	v_mul_f32_e32 v2, v30, v52
	v_mul_f32_e32 v13, v16, v52
	;; [unrolled: 1-line block ×3, first 2 shown]
	s_waitcnt lgkmcnt(0)
	v_mul_f32_e32 v3, v43, v54
	v_fma_f32 v2, v16, v51, -v2
	v_fmac_f32_e32 v13, v30, v51
	v_fmac_f32_e32 v50, v43, v53
	s_waitcnt vmcnt(3)
	v_mul_f32_e32 v30, v27, v56
	v_mul_f32_e32 v43, v28, v58
	v_fma_f32 v16, v29, v53, -v3
	v_mul_f32_e32 v3, v39, v56
	v_add_f32_e32 v56, v25, v2
	v_fmac_f32_e32 v30, v39, v55
	v_fmac_f32_e32 v43, v42, v57
	v_mul_f32_e32 v29, v42, v58
	v_sub_f32_e32 v51, v2, v16
	v_add_f32_e32 v52, v13, v50
	v_add_f32_e32 v53, v2, v16
	v_sub_f32_e32 v54, v13, v50
	v_add_f32_e32 v13, v41, v13
	v_fma_f32 v58, v27, v55, -v3
	v_add_f32_e32 v27, v56, v16
	v_add_f32_e32 v16, v30, v43
	v_fma_f32 v67, v28, v57, -v29
	v_add_f32_e32 v28, v13, v50
	v_sub_f32_e32 v50, v30, v43
	v_add_f32_e32 v42, v40, v30
	v_fma_f32 v30, -0.5, v16, v40
	v_sub_f32_e32 v13, v58, v67
	v_add_f32_e32 v40, v42, v43
	v_mov_b32_e32 v42, v30
	s_waitcnt vmcnt(2)
	v_mul_f32_e32 v55, v26, v60
	v_fmac_f32_e32 v30, 0xbf5db3d7, v13
	v_fmac_f32_e32 v42, 0x3f5db3d7, v13
	v_mul_f32_e32 v13, v23, v62
	v_mul_f32_e32 v39, v37, v62
	v_fmac_f32_e32 v55, v38, v59
	v_fmac_f32_e32 v13, v37, v61
	v_mul_f32_e32 v29, v38, v60
	v_fma_f32 v3, -0.5, v52, v41
	v_add_f32_e32 v41, v58, v67
	v_fma_f32 v56, v23, v61, -v39
	v_add_f32_e32 v23, v55, v13
	v_fma_f32 v2, -0.5, v53, v25
	v_add_f32_e32 v52, v24, v58
	v_fma_f32 v53, v26, v59, -v29
	v_fma_f32 v29, -0.5, v41, v24
	v_fma_f32 v24, -0.5, v23, v35
	v_sub_f32_e32 v16, v53, v56
	v_mov_b32_e32 v38, v24
	v_mov_b32_e32 v26, v3
	v_fmac_f32_e32 v38, 0x3f5db3d7, v16
	v_fmac_f32_e32 v24, 0xbf5db3d7, v16
	v_add_f32_e32 v16, v35, v55
	v_fmac_f32_e32 v3, 0xbf5db3d7, v51
	v_fmac_f32_e32 v26, 0x3f5db3d7, v51
	v_mov_b32_e32 v41, v29
	v_sub_f32_e32 v43, v55, v13
	v_add_f32_e32 v51, v16, v13
	v_add_f32_e32 v13, v21, v53
	v_fmac_f32_e32 v29, 0x3f5db3d7, v50
	v_fmac_f32_e32 v41, 0xbf5db3d7, v50
	v_add_f32_e32 v50, v13, v56
	s_waitcnt vmcnt(1)
	v_mul_f32_e32 v13, v33, v47
	v_fma_f32 v13, v19, v46, -v13
	v_mul_f32_e32 v19, v19, v47
	v_fmac_f32_e32 v19, v33, v46
	v_mul_f32_e32 v33, v22, v49
	v_add_f32_e32 v23, v53, v56
	v_mul_f32_e32 v16, v36, v49
	v_fmac_f32_e32 v33, v36, v48
	v_fma_f32 v23, -0.5, v23, v21
	v_fma_f32 v16, v22, v48, -v16
	v_add_f32_e32 v21, v19, v33
	v_fma_f32 v22, -0.5, v21, v34
	v_add_f32_e32 v21, v13, v16
	v_fma_f32 v21, -0.5, v21, v20
	v_mov_b32_e32 v37, v23
	v_sub_f32_e32 v46, v19, v33
	v_mov_b32_e32 v35, v21
	v_fmac_f32_e32 v37, 0xbf5db3d7, v43
	v_fmac_f32_e32 v23, 0x3f5db3d7, v43
	v_sub_f32_e32 v43, v13, v16
	v_fmac_f32_e32 v35, 0xbf5db3d7, v46
	v_fmac_f32_e32 v21, 0x3f5db3d7, v46
	v_add_f32_e32 v19, v34, v19
	v_add_f32_e32 v13, v20, v13
	s_waitcnt vmcnt(0)
	v_mul_f32_e32 v46, v18, v64
	v_add_f32_e32 v34, v19, v33
	v_add_f32_e32 v33, v13, v16
	v_mul_f32_e32 v13, v32, v64
	v_fmac_f32_e32 v46, v32, v63
	v_mul_f32_e32 v32, v17, v66
	v_mul_f32_e32 v16, v31, v66
	v_fmac_f32_e32 v32, v31, v65
	v_fma_f32 v13, v18, v63, -v13
	v_fma_f32 v20, v17, v65, -v16
	v_add_f32_e32 v16, v46, v32
	v_mul_hi_u32 v47, v45, s3
	v_fma_f32 v17, -0.5, v16, v15
	v_add_f32_e32 v16, v13, v20
	v_mov_b32_e32 v36, v22
	v_fma_f32 v16, -0.5, v16, v9
	v_fmac_f32_e32 v36, 0x3f5db3d7, v43
	v_fmac_f32_e32 v22, 0xbf5db3d7, v43
	v_sub_f32_e32 v43, v13, v20
	v_sub_f32_e32 v31, v46, v32
	v_mov_b32_e32 v18, v16
	v_add_f32_e32 v9, v9, v13
	v_mov_b32_e32 v13, s15
	v_mov_b32_e32 v19, v17
	v_fmac_f32_e32 v18, 0xbf5db3d7, v31
	v_fmac_f32_e32 v16, 0x3f5db3d7, v31
	v_add_f32_e32 v15, v15, v46
	v_lshrrev_b32_e32 v31, 5, v47
	v_addc_co_u32_e64 v7, s[0:1], v13, v7, s[0:1]
	v_add_u32_e32 v13, 27, v45
	v_fmac_f32_e32 v19, 0x3f5db3d7, v43
	v_fmac_f32_e32 v17, 0xbf5db3d7, v43
	v_mul_lo_u32 v43, v31, s2
	v_add_f32_e32 v32, v15, v32
	v_mul_hi_u32 v15, v13, s3
	v_add_f32_e32 v31, v9, v20
	v_sub_u32_e32 v9, v45, v43
	v_add_co_u32_e64 v4, s[0:1], v6, v4
	v_lshrrev_b32_e32 v15, 5, v15
	v_lshlrev_b32_e32 v6, 3, v9
	v_mul_lo_u32 v9, v15, s2
	v_addc_co_u32_e64 v5, s[0:1], v7, v5, s[0:1]
	v_add_co_u32_e64 v6, s[0:1], v4, v6
	v_addc_co_u32_e64 v7, s[0:1], 0, v5, s[0:1]
	v_sub_u32_e32 v9, v13, v9
	global_store_dwordx2 v[6:7], v[31:32], off
	v_mad_u64_u32 v[31:32], s[0:1], v15, s4, v[9:10]
	v_mov_b32_e32 v32, v14
	global_store_dwordx2 v[6:7], v[16:17], off offset:1152
	global_store_dwordx2 v[6:7], v[18:19], off offset:2304
	v_lshlrev_b64 v[6:7], 3, v[31:32]
	v_add_u32_e32 v13, 0x90, v31
	v_add_co_u32_e64 v6, s[0:1], v4, v6
	v_addc_co_u32_e64 v7, s[0:1], v5, v7, s[0:1]
	v_add_u32_e32 v9, 54, v45
	global_store_dwordx2 v[6:7], v[33:34], off
	v_lshlrev_b64 v[6:7], 3, v[13:14]
	v_mul_hi_u32 v13, v9, s3
	v_add_co_u32_e64 v6, s[0:1], v4, v6
	v_addc_co_u32_e64 v7, s[0:1], v5, v7, s[0:1]
	v_lshrrev_b32_e32 v15, 5, v13
	v_mul_lo_u32 v16, v15, s2
	v_add_u32_e32 v13, 0x120, v31
	global_store_dwordx2 v[6:7], v[21:22], off
	v_lshlrev_b64 v[6:7], 3, v[13:14]
	v_sub_u32_e32 v9, v9, v16
	v_mad_u64_u32 v[15:16], s[0:1], v15, s4, v[9:10]
	v_add_co_u32_e64 v6, s[0:1], v4, v6
	v_addc_co_u32_e64 v7, s[0:1], v5, v7, s[0:1]
	v_mov_b32_e32 v16, v14
	global_store_dwordx2 v[6:7], v[35:36], off
	v_lshlrev_b64 v[6:7], 3, v[15:16]
	v_add_u32_e32 v13, 0x90, v15
	v_add_co_u32_e64 v6, s[0:1], v4, v6
	v_addc_co_u32_e64 v7, s[0:1], v5, v7, s[0:1]
	v_add_u32_e32 v9, 0x51, v45
	global_store_dwordx2 v[6:7], v[50:51], off
	v_lshlrev_b64 v[6:7], 3, v[13:14]
	v_mul_hi_u32 v13, v9, s3
	v_add_co_u32_e64 v6, s[0:1], v4, v6
	v_addc_co_u32_e64 v7, s[0:1], v5, v7, s[0:1]
	v_lshrrev_b32_e32 v16, 5, v13
	v_mul_lo_u32 v17, v16, s2
	v_add_u32_e32 v13, 0x120, v15
	global_store_dwordx2 v[6:7], v[23:24], off
	v_lshlrev_b64 v[6:7], 3, v[13:14]
	v_sub_u32_e32 v9, v9, v17
	v_mad_u64_u32 v[15:16], s[0:1], v16, s4, v[9:10]
	v_add_co_u32_e64 v6, s[0:1], v4, v6
	v_addc_co_u32_e64 v7, s[0:1], v5, v7, s[0:1]
	v_mov_b32_e32 v16, v14
	global_store_dwordx2 v[6:7], v[37:38], off
	v_lshlrev_b64 v[6:7], 3, v[15:16]
	v_add_f32_e32 v39, v52, v67
	v_add_co_u32_e64 v6, s[0:1], v4, v6
	v_addc_co_u32_e64 v7, s[0:1], v5, v7, s[0:1]
	v_add_u32_e32 v13, 0x90, v15
	v_add_u32_e32 v9, 0x6c, v45
	global_store_dwordx2 v[6:7], v[39:40], off
	v_lshlrev_b64 v[6:7], 3, v[13:14]
	v_mul_hi_u32 v13, v9, s3
	v_add_co_u32_e64 v6, s[0:1], v4, v6
	v_addc_co_u32_e64 v7, s[0:1], v5, v7, s[0:1]
	v_lshrrev_b32_e32 v16, 5, v13
	v_mul_lo_u32 v17, v16, s2
	v_add_u32_e32 v13, 0x120, v15
	global_store_dwordx2 v[6:7], v[29:30], off
	v_lshlrev_b64 v[6:7], 3, v[13:14]
	v_sub_u32_e32 v9, v9, v17
	v_mad_u64_u32 v[15:16], s[0:1], v16, s4, v[9:10]
	v_add_co_u32_e64 v6, s[0:1], v4, v6
	v_addc_co_u32_e64 v7, s[0:1], v5, v7, s[0:1]
	v_mov_b32_e32 v16, v14
	global_store_dwordx2 v[6:7], v[41:42], off
	v_lshlrev_b64 v[6:7], 3, v[15:16]
	v_add_u32_e32 v13, 0x90, v15
	v_add_co_u32_e64 v6, s[0:1], v4, v6
	v_addc_co_u32_e64 v7, s[0:1], v5, v7, s[0:1]
	global_store_dwordx2 v[6:7], v[27:28], off
	v_lshlrev_b64 v[6:7], 3, v[13:14]
	v_mov_b32_e32 v25, v2
	v_add_co_u32_e64 v6, s[0:1], v4, v6
	v_fmac_f32_e32 v2, 0x3f5db3d7, v54
	v_addc_co_u32_e64 v7, s[0:1], v5, v7, s[0:1]
	v_add_u32_e32 v13, 0x120, v15
	global_store_dwordx2 v[6:7], v[2:3], off
	v_lshlrev_b64 v[2:3], 3, v[13:14]
	v_fmac_f32_e32 v25, 0xbf5db3d7, v54
	v_add_co_u32_e64 v2, s[0:1], v4, v2
	v_addc_co_u32_e64 v3, s[0:1], v5, v3, s[0:1]
	global_store_dwordx2 v[2:3], v[25:26], off
	v_add_u32_e32 v2, 0x87, v45
	v_cmp_gt_u32_e64 s[0:1], s2, v2
	s_and_b64 exec, exec, s[0:1]
	s_cbranch_execz .LBB0_34
; %bb.33:
	v_add_u32_e32 v3, -9, v45
	v_cndmask_b32_e32 v3, v3, v44, vcc
	v_lshlrev_b32_e32 v13, 1, v3
	v_lshlrev_b64 v[6:7], 3, v[13:14]
	v_mov_b32_e32 v3, s9
	v_add_co_u32_e32 v6, vcc, s8, v6
	v_addc_co_u32_e32 v7, vcc, v3, v7, vcc
	global_load_dwordx4 v[15:18], v[6:7], off offset:1128
	v_mov_b32_e32 v3, v14
	v_lshlrev_b64 v[2:3], 3, v[2:3]
	v_add_u32_e32 v13, 0x117, v45
	v_add_co_u32_e32 v2, vcc, v4, v2
	v_lshlrev_b64 v[6:7], 3, v[13:14]
	v_addc_co_u32_e32 v3, vcc, v5, v3, vcc
	v_add_u32_e32 v13, 0x1a7, v45
	v_lshlrev_b64 v[13:14], 3, v[13:14]
	v_add_co_u32_e32 v6, vcc, v4, v6
	v_addc_co_u32_e32 v7, vcc, v5, v7, vcc
	v_add_co_u32_e32 v4, vcc, v4, v13
	v_addc_co_u32_e32 v5, vcc, v5, v14, vcc
	s_waitcnt vmcnt(0)
	v_mul_f32_e32 v9, v12, v16
	v_mul_f32_e32 v13, v1, v16
	;; [unrolled: 1-line block ×4, first 2 shown]
	v_fma_f32 v1, v1, v15, -v9
	v_fmac_f32_e32 v13, v12, v15
	v_fma_f32 v8, v8, v17, -v14
	v_fmac_f32_e32 v16, v10, v17
	v_add_f32_e32 v10, v1, v8
	v_sub_f32_e32 v14, v13, v16
	v_add_f32_e32 v12, v11, v13
	v_add_f32_e32 v13, v13, v16
	v_add_f32_e32 v9, v0, v1
	v_fmac_f32_e32 v0, -0.5, v10
	v_fmac_f32_e32 v11, -0.5, v13
	v_sub_f32_e32 v1, v1, v8
	v_add_f32_e32 v8, v9, v8
	v_add_f32_e32 v9, v12, v16
	v_mov_b32_e32 v12, v0
	v_mov_b32_e32 v13, v11
	v_fmac_f32_e32 v11, 0x3f5db3d7, v1
	v_fmac_f32_e32 v12, 0x3f5db3d7, v14
	;; [unrolled: 1-line block ×4, first 2 shown]
	global_store_dwordx2 v[2:3], v[8:9], off
	v_mov_b32_e32 v1, v11
	global_store_dwordx2 v[6:7], v[12:13], off
	global_store_dwordx2 v[4:5], v[0:1], off
.LBB0_34:
	s_endpgm
	.section	.rodata,"a",@progbits
	.p2align	6, 0x0
	.amdhsa_kernel fft_rtc_fwd_len432_factors_3_16_3_3_wgs_54_tpt_27_halfLds_sp_op_CI_CI_unitstride_sbrr_dirReg
		.amdhsa_group_segment_fixed_size 0
		.amdhsa_private_segment_fixed_size 0
		.amdhsa_kernarg_size 104
		.amdhsa_user_sgpr_count 6
		.amdhsa_user_sgpr_private_segment_buffer 1
		.amdhsa_user_sgpr_dispatch_ptr 0
		.amdhsa_user_sgpr_queue_ptr 0
		.amdhsa_user_sgpr_kernarg_segment_ptr 1
		.amdhsa_user_sgpr_dispatch_id 0
		.amdhsa_user_sgpr_flat_scratch_init 0
		.amdhsa_user_sgpr_private_segment_size 0
		.amdhsa_uses_dynamic_stack 0
		.amdhsa_system_sgpr_private_segment_wavefront_offset 0
		.amdhsa_system_sgpr_workgroup_id_x 1
		.amdhsa_system_sgpr_workgroup_id_y 0
		.amdhsa_system_sgpr_workgroup_id_z 0
		.amdhsa_system_sgpr_workgroup_info 0
		.amdhsa_system_vgpr_workitem_id 0
		.amdhsa_next_free_vgpr 84
		.amdhsa_next_free_sgpr 28
		.amdhsa_reserve_vcc 1
		.amdhsa_reserve_flat_scratch 0
		.amdhsa_float_round_mode_32 0
		.amdhsa_float_round_mode_16_64 0
		.amdhsa_float_denorm_mode_32 3
		.amdhsa_float_denorm_mode_16_64 3
		.amdhsa_dx10_clamp 1
		.amdhsa_ieee_mode 1
		.amdhsa_fp16_overflow 0
		.amdhsa_exception_fp_ieee_invalid_op 0
		.amdhsa_exception_fp_denorm_src 0
		.amdhsa_exception_fp_ieee_div_zero 0
		.amdhsa_exception_fp_ieee_overflow 0
		.amdhsa_exception_fp_ieee_underflow 0
		.amdhsa_exception_fp_ieee_inexact 0
		.amdhsa_exception_int_div_zero 0
	.end_amdhsa_kernel
	.text
.Lfunc_end0:
	.size	fft_rtc_fwd_len432_factors_3_16_3_3_wgs_54_tpt_27_halfLds_sp_op_CI_CI_unitstride_sbrr_dirReg, .Lfunc_end0-fft_rtc_fwd_len432_factors_3_16_3_3_wgs_54_tpt_27_halfLds_sp_op_CI_CI_unitstride_sbrr_dirReg
                                        ; -- End function
	.section	.AMDGPU.csdata,"",@progbits
; Kernel info:
; codeLenInByte = 7984
; NumSgprs: 32
; NumVgprs: 84
; ScratchSize: 0
; MemoryBound: 0
; FloatMode: 240
; IeeeMode: 1
; LDSByteSize: 0 bytes/workgroup (compile time only)
; SGPRBlocks: 3
; VGPRBlocks: 20
; NumSGPRsForWavesPerEU: 32
; NumVGPRsForWavesPerEU: 84
; Occupancy: 3
; WaveLimiterHint : 1
; COMPUTE_PGM_RSRC2:SCRATCH_EN: 0
; COMPUTE_PGM_RSRC2:USER_SGPR: 6
; COMPUTE_PGM_RSRC2:TRAP_HANDLER: 0
; COMPUTE_PGM_RSRC2:TGID_X_EN: 1
; COMPUTE_PGM_RSRC2:TGID_Y_EN: 0
; COMPUTE_PGM_RSRC2:TGID_Z_EN: 0
; COMPUTE_PGM_RSRC2:TIDIG_COMP_CNT: 0
	.type	__hip_cuid_119eb1ea026e0f0e,@object ; @__hip_cuid_119eb1ea026e0f0e
	.section	.bss,"aw",@nobits
	.globl	__hip_cuid_119eb1ea026e0f0e
__hip_cuid_119eb1ea026e0f0e:
	.byte	0                               ; 0x0
	.size	__hip_cuid_119eb1ea026e0f0e, 1

	.ident	"AMD clang version 19.0.0git (https://github.com/RadeonOpenCompute/llvm-project roc-6.4.0 25133 c7fe45cf4b819c5991fe208aaa96edf142730f1d)"
	.section	".note.GNU-stack","",@progbits
	.addrsig
	.addrsig_sym __hip_cuid_119eb1ea026e0f0e
	.amdgpu_metadata
---
amdhsa.kernels:
  - .args:
      - .actual_access:  read_only
        .address_space:  global
        .offset:         0
        .size:           8
        .value_kind:     global_buffer
      - .offset:         8
        .size:           8
        .value_kind:     by_value
      - .actual_access:  read_only
        .address_space:  global
        .offset:         16
        .size:           8
        .value_kind:     global_buffer
      - .actual_access:  read_only
        .address_space:  global
        .offset:         24
        .size:           8
        .value_kind:     global_buffer
      - .actual_access:  read_only
        .address_space:  global
        .offset:         32
        .size:           8
        .value_kind:     global_buffer
      - .offset:         40
        .size:           8
        .value_kind:     by_value
      - .actual_access:  read_only
        .address_space:  global
        .offset:         48
        .size:           8
        .value_kind:     global_buffer
      - .actual_access:  read_only
        .address_space:  global
        .offset:         56
        .size:           8
        .value_kind:     global_buffer
      - .offset:         64
        .size:           4
        .value_kind:     by_value
      - .actual_access:  read_only
        .address_space:  global
        .offset:         72
        .size:           8
        .value_kind:     global_buffer
      - .actual_access:  read_only
        .address_space:  global
        .offset:         80
        .size:           8
        .value_kind:     global_buffer
      - .actual_access:  read_only
        .address_space:  global
        .offset:         88
        .size:           8
        .value_kind:     global_buffer
      - .actual_access:  write_only
        .address_space:  global
        .offset:         96
        .size:           8
        .value_kind:     global_buffer
    .group_segment_fixed_size: 0
    .kernarg_segment_align: 8
    .kernarg_segment_size: 104
    .language:       OpenCL C
    .language_version:
      - 2
      - 0
    .max_flat_workgroup_size: 54
    .name:           fft_rtc_fwd_len432_factors_3_16_3_3_wgs_54_tpt_27_halfLds_sp_op_CI_CI_unitstride_sbrr_dirReg
    .private_segment_fixed_size: 0
    .sgpr_count:     32
    .sgpr_spill_count: 0
    .symbol:         fft_rtc_fwd_len432_factors_3_16_3_3_wgs_54_tpt_27_halfLds_sp_op_CI_CI_unitstride_sbrr_dirReg.kd
    .uniform_work_group_size: 1
    .uses_dynamic_stack: false
    .vgpr_count:     84
    .vgpr_spill_count: 0
    .wavefront_size: 64
amdhsa.target:   amdgcn-amd-amdhsa--gfx906
amdhsa.version:
  - 1
  - 2
...

	.end_amdgpu_metadata
